;; amdgpu-corpus repo=ROCm/rocFFT kind=compiled arch=gfx906 opt=O3
	.text
	.amdgcn_target "amdgcn-amd-amdhsa--gfx906"
	.amdhsa_code_object_version 6
	.protected	fft_rtc_back_len176_factors_11_16_wgs_64_tpt_16_halfLds_half_ip_CI_unitstride_sbrr_R2C_dirReg ; -- Begin function fft_rtc_back_len176_factors_11_16_wgs_64_tpt_16_halfLds_half_ip_CI_unitstride_sbrr_R2C_dirReg
	.globl	fft_rtc_back_len176_factors_11_16_wgs_64_tpt_16_halfLds_half_ip_CI_unitstride_sbrr_R2C_dirReg
	.p2align	8
	.type	fft_rtc_back_len176_factors_11_16_wgs_64_tpt_16_halfLds_half_ip_CI_unitstride_sbrr_R2C_dirReg,@function
fft_rtc_back_len176_factors_11_16_wgs_64_tpt_16_halfLds_half_ip_CI_unitstride_sbrr_R2C_dirReg: ; @fft_rtc_back_len176_factors_11_16_wgs_64_tpt_16_halfLds_half_ip_CI_unitstride_sbrr_R2C_dirReg
; %bb.0:
	s_load_dwordx2 s[2:3], s[4:5], 0x50
	s_load_dwordx4 s[8:11], s[4:5], 0x0
	s_load_dwordx2 s[12:13], s[4:5], 0x18
	v_lshrrev_b32_e32 v9, 4, v0
	v_mov_b32_e32 v3, 0
	v_mov_b32_e32 v1, 0
	s_waitcnt lgkmcnt(0)
	v_cmp_lt_u64_e64 s[0:1], s[10:11], 2
	v_lshl_or_b32 v5, s6, 2, v9
	v_mov_b32_e32 v6, v3
	s_and_b64 vcc, exec, s[0:1]
	v_mov_b32_e32 v2, 0
	s_cbranch_vccnz .LBB0_8
; %bb.1:
	s_load_dwordx2 s[0:1], s[4:5], 0x10
	s_add_u32 s6, s12, 8
	s_addc_u32 s7, s13, 0
	v_mov_b32_e32 v1, 0
	v_mov_b32_e32 v2, 0
	s_waitcnt lgkmcnt(0)
	s_add_u32 s14, s0, 8
	s_addc_u32 s15, s1, 0
	s_mov_b64 s[16:17], 1
.LBB0_2:                                ; =>This Inner Loop Header: Depth=1
	s_load_dwordx2 s[18:19], s[14:15], 0x0
                                        ; implicit-def: $vgpr7_vgpr8
	s_waitcnt lgkmcnt(0)
	v_or_b32_e32 v4, s19, v6
	v_cmp_ne_u64_e32 vcc, 0, v[3:4]
	s_and_saveexec_b64 s[0:1], vcc
	s_xor_b64 s[20:21], exec, s[0:1]
	s_cbranch_execz .LBB0_4
; %bb.3:                                ;   in Loop: Header=BB0_2 Depth=1
	v_cvt_f32_u32_e32 v4, s18
	v_cvt_f32_u32_e32 v7, s19
	s_sub_u32 s0, 0, s18
	s_subb_u32 s1, 0, s19
	v_mac_f32_e32 v4, 0x4f800000, v7
	v_rcp_f32_e32 v4, v4
	v_mul_f32_e32 v4, 0x5f7ffffc, v4
	v_mul_f32_e32 v7, 0x2f800000, v4
	v_trunc_f32_e32 v7, v7
	v_mac_f32_e32 v4, 0xcf800000, v7
	v_cvt_u32_f32_e32 v7, v7
	v_cvt_u32_f32_e32 v4, v4
	v_mul_lo_u32 v8, s0, v7
	v_mul_hi_u32 v10, s0, v4
	v_mul_lo_u32 v12, s1, v4
	v_mul_lo_u32 v11, s0, v4
	v_add_u32_e32 v8, v10, v8
	v_add_u32_e32 v8, v8, v12
	v_mul_hi_u32 v10, v4, v11
	v_mul_lo_u32 v12, v4, v8
	v_mul_hi_u32 v14, v4, v8
	v_mul_hi_u32 v13, v7, v11
	v_mul_lo_u32 v11, v7, v11
	v_mul_hi_u32 v15, v7, v8
	v_add_co_u32_e32 v10, vcc, v10, v12
	v_addc_co_u32_e32 v12, vcc, 0, v14, vcc
	v_mul_lo_u32 v8, v7, v8
	v_add_co_u32_e32 v10, vcc, v10, v11
	v_addc_co_u32_e32 v10, vcc, v12, v13, vcc
	v_addc_co_u32_e32 v11, vcc, 0, v15, vcc
	v_add_co_u32_e32 v8, vcc, v10, v8
	v_addc_co_u32_e32 v10, vcc, 0, v11, vcc
	v_add_co_u32_e32 v4, vcc, v4, v8
	v_addc_co_u32_e32 v7, vcc, v7, v10, vcc
	v_mul_lo_u32 v8, s0, v7
	v_mul_hi_u32 v10, s0, v4
	v_mul_lo_u32 v11, s1, v4
	v_mul_lo_u32 v12, s0, v4
	v_add_u32_e32 v8, v10, v8
	v_add_u32_e32 v8, v8, v11
	v_mul_lo_u32 v13, v4, v8
	v_mul_hi_u32 v14, v4, v12
	v_mul_hi_u32 v15, v4, v8
	;; [unrolled: 1-line block ×3, first 2 shown]
	v_mul_lo_u32 v12, v7, v12
	v_mul_hi_u32 v10, v7, v8
	v_add_co_u32_e32 v13, vcc, v14, v13
	v_addc_co_u32_e32 v14, vcc, 0, v15, vcc
	v_mul_lo_u32 v8, v7, v8
	v_add_co_u32_e32 v12, vcc, v13, v12
	v_addc_co_u32_e32 v11, vcc, v14, v11, vcc
	v_addc_co_u32_e32 v10, vcc, 0, v10, vcc
	v_add_co_u32_e32 v8, vcc, v11, v8
	v_addc_co_u32_e32 v10, vcc, 0, v10, vcc
	v_add_co_u32_e32 v4, vcc, v4, v8
	v_addc_co_u32_e32 v10, vcc, v7, v10, vcc
	v_mad_u64_u32 v[7:8], s[0:1], v5, v10, 0
	v_mul_hi_u32 v11, v5, v4
	v_add_co_u32_e32 v12, vcc, v11, v7
	v_addc_co_u32_e32 v13, vcc, 0, v8, vcc
	v_mad_u64_u32 v[7:8], s[0:1], v6, v4, 0
	v_mad_u64_u32 v[10:11], s[0:1], v6, v10, 0
	v_add_co_u32_e32 v4, vcc, v12, v7
	v_addc_co_u32_e32 v4, vcc, v13, v8, vcc
	v_addc_co_u32_e32 v7, vcc, 0, v11, vcc
	v_add_co_u32_e32 v4, vcc, v4, v10
	v_addc_co_u32_e32 v10, vcc, 0, v7, vcc
	v_mul_lo_u32 v11, s19, v4
	v_mul_lo_u32 v12, s18, v10
	v_mad_u64_u32 v[7:8], s[0:1], s18, v4, 0
	v_add3_u32 v8, v8, v12, v11
	v_sub_u32_e32 v11, v6, v8
	v_mov_b32_e32 v12, s19
	v_sub_co_u32_e32 v7, vcc, v5, v7
	v_subb_co_u32_e64 v11, s[0:1], v11, v12, vcc
	v_subrev_co_u32_e64 v12, s[0:1], s18, v7
	v_subbrev_co_u32_e64 v11, s[0:1], 0, v11, s[0:1]
	v_cmp_le_u32_e64 s[0:1], s19, v11
	v_cndmask_b32_e64 v13, 0, -1, s[0:1]
	v_cmp_le_u32_e64 s[0:1], s18, v12
	v_cndmask_b32_e64 v12, 0, -1, s[0:1]
	v_cmp_eq_u32_e64 s[0:1], s19, v11
	v_cndmask_b32_e64 v11, v13, v12, s[0:1]
	v_add_co_u32_e64 v12, s[0:1], 2, v4
	v_addc_co_u32_e64 v13, s[0:1], 0, v10, s[0:1]
	v_add_co_u32_e64 v14, s[0:1], 1, v4
	v_addc_co_u32_e64 v15, s[0:1], 0, v10, s[0:1]
	v_subb_co_u32_e32 v8, vcc, v6, v8, vcc
	v_cmp_ne_u32_e64 s[0:1], 0, v11
	v_cmp_le_u32_e32 vcc, s19, v8
	v_cndmask_b32_e64 v11, v15, v13, s[0:1]
	v_cndmask_b32_e64 v13, 0, -1, vcc
	v_cmp_le_u32_e32 vcc, s18, v7
	v_cndmask_b32_e64 v7, 0, -1, vcc
	v_cmp_eq_u32_e32 vcc, s19, v8
	v_cndmask_b32_e32 v7, v13, v7, vcc
	v_cmp_ne_u32_e32 vcc, 0, v7
	v_cndmask_b32_e64 v7, v14, v12, s[0:1]
	v_cndmask_b32_e32 v8, v10, v11, vcc
	v_cndmask_b32_e32 v7, v4, v7, vcc
.LBB0_4:                                ;   in Loop: Header=BB0_2 Depth=1
	s_andn2_saveexec_b64 s[0:1], s[20:21]
	s_cbranch_execz .LBB0_6
; %bb.5:                                ;   in Loop: Header=BB0_2 Depth=1
	v_cvt_f32_u32_e32 v4, s18
	s_sub_i32 s20, 0, s18
	v_rcp_iflag_f32_e32 v4, v4
	v_mul_f32_e32 v4, 0x4f7ffffe, v4
	v_cvt_u32_f32_e32 v4, v4
	v_mul_lo_u32 v7, s20, v4
	v_mul_hi_u32 v7, v4, v7
	v_add_u32_e32 v4, v4, v7
	v_mul_hi_u32 v4, v5, v4
	v_mul_lo_u32 v7, v4, s18
	v_add_u32_e32 v8, 1, v4
	v_sub_u32_e32 v7, v5, v7
	v_subrev_u32_e32 v10, s18, v7
	v_cmp_le_u32_e32 vcc, s18, v7
	v_cndmask_b32_e32 v7, v7, v10, vcc
	v_cndmask_b32_e32 v4, v4, v8, vcc
	v_add_u32_e32 v8, 1, v4
	v_cmp_le_u32_e32 vcc, s18, v7
	v_cndmask_b32_e32 v7, v4, v8, vcc
	v_mov_b32_e32 v8, v3
.LBB0_6:                                ;   in Loop: Header=BB0_2 Depth=1
	s_or_b64 exec, exec, s[0:1]
	v_mul_lo_u32 v4, v8, s18
	v_mul_lo_u32 v12, v7, s19
	v_mad_u64_u32 v[10:11], s[0:1], v7, s18, 0
	s_load_dwordx2 s[0:1], s[6:7], 0x0
	s_add_u32 s16, s16, 1
	v_add3_u32 v4, v11, v12, v4
	v_sub_co_u32_e32 v5, vcc, v5, v10
	v_subb_co_u32_e32 v4, vcc, v6, v4, vcc
	s_waitcnt lgkmcnt(0)
	v_mul_lo_u32 v4, s0, v4
	v_mul_lo_u32 v6, s1, v5
	v_mad_u64_u32 v[1:2], s[0:1], s0, v5, v[1:2]
	s_addc_u32 s17, s17, 0
	s_add_u32 s6, s6, 8
	v_add3_u32 v2, v6, v2, v4
	v_mov_b32_e32 v4, s10
	v_mov_b32_e32 v5, s11
	s_addc_u32 s7, s7, 0
	v_cmp_ge_u64_e32 vcc, s[16:17], v[4:5]
	s_add_u32 s14, s14, 8
	s_addc_u32 s15, s15, 0
	s_cbranch_vccnz .LBB0_9
; %bb.7:                                ;   in Loop: Header=BB0_2 Depth=1
	v_mov_b32_e32 v5, v7
	v_mov_b32_e32 v6, v8
	s_branch .LBB0_2
.LBB0_8:
	v_mov_b32_e32 v8, v6
	v_mov_b32_e32 v7, v5
.LBB0_9:
	s_lshl_b64 s[0:1], s[10:11], 3
	s_add_u32 s0, s12, s0
	s_addc_u32 s1, s13, s1
	s_load_dwordx2 s[6:7], s[0:1], 0x0
	s_load_dwordx2 s[10:11], s[4:5], 0x20
	v_mul_u32_u24_e32 v5, 0xb1, v9
	v_and_b32_e32 v0, 15, v0
	s_waitcnt lgkmcnt(0)
	v_mul_lo_u32 v3, s6, v8
	v_mul_lo_u32 v4, s7, v7
	v_mad_u64_u32 v[1:2], s[0:1], s6, v7, v[1:2]
	v_cmp_gt_u64_e32 vcc, s[10:11], v[7:8]
	v_add3_u32 v2, v4, v2, v3
	v_lshlrev_b64 v[2:3], 2, v[1:2]
	v_lshlrev_b32_e32 v1, 2, v0
	v_lshlrev_b32_e32 v4, 2, v5
	s_and_saveexec_b64 s[4:5], vcc
	s_cbranch_execz .LBB0_11
; %bb.10:
	v_mov_b32_e32 v5, s3
	v_add_co_u32_e64 v6, s[0:1], s2, v2
	v_addc_co_u32_e64 v7, s[0:1], v5, v3, s[0:1]
	v_add_co_u32_e64 v5, s[0:1], v6, v1
	v_addc_co_u32_e64 v6, s[0:1], 0, v7, s[0:1]
	global_load_dword v7, v[5:6], off
	global_load_dword v8, v[5:6], off offset:64
	global_load_dword v9, v[5:6], off offset:128
	;; [unrolled: 1-line block ×10, first 2 shown]
	v_add3_u32 v5, 0, v4, v1
	s_waitcnt vmcnt(9)
	ds_write2_b32 v5, v7, v8 offset1:16
	s_waitcnt vmcnt(7)
	ds_write2_b32 v5, v9, v10 offset0:32 offset1:48
	s_waitcnt vmcnt(5)
	ds_write2_b32 v5, v11, v12 offset0:64 offset1:80
	;; [unrolled: 2-line block ×4, first 2 shown]
	s_waitcnt vmcnt(0)
	ds_write_b32 v5, v17 offset:640
.LBB0_11:
	s_or_b64 exec, exec, s[4:5]
	v_add_u32_e32 v19, 0, v4
	v_add_u32_e32 v18, v19, v1
	s_waitcnt lgkmcnt(0)
	; wave barrier
	s_waitcnt lgkmcnt(0)
	v_add3_u32 v20, 0, v1, v4
	ds_read_b32 v12, v18
	ds_read2_b32 v[4:5], v20 offset0:16 offset1:32
	ds_read2_b32 v[6:7], v20 offset0:48 offset1:64
	;; [unrolled: 1-line block ×4, first 2 shown]
	s_mov_b32 s5, 0xb853
	s_waitcnt lgkmcnt(3)
	v_pk_add_f16 v13, v12, v4
	v_pk_add_f16 v13, v13, v5
	s_waitcnt lgkmcnt(2)
	v_pk_add_f16 v13, v13, v6
	v_pk_add_f16 v13, v13, v7
	s_waitcnt lgkmcnt(0)
	v_pk_add_f16 v14, v11, v6
	v_pk_add_f16 v15, v6, v11 neg_lo:[0,1] neg_hi:[0,1]
	v_pk_add_f16 v26, v10, v7
	v_pk_add_f16 v28, v7, v10 neg_lo:[0,1] neg_hi:[0,1]
	ds_read2_b32 v[6:7], v20 offset0:144 offset1:160
	v_pk_add_f16 v13, v13, v8
	v_pk_add_f16 v13, v13, v9
	;; [unrolled: 1-line block ×4, first 2 shown]
	s_waitcnt lgkmcnt(0)
	v_pk_add_f16 v11, v7, v4
	v_pk_add_f16 v13, v4, v7 neg_lo:[0,1] neg_hi:[0,1]
	v_pk_add_f16 v4, v10, v6
	v_pk_add_f16 v30, v5, v6 neg_lo:[0,1] neg_hi:[0,1]
	v_pk_add_f16 v21, v4, v7
	v_mul_f16_sdwa v4, v13, s5 dst_sel:DWORD dst_unused:UNUSED_PAD src0_sel:WORD_1 src1_sel:DWORD
	s_movk_i32 s7, 0x3abb
	s_mov_b32 s0, 0xbb47
	v_pk_add_f16 v27, v6, v5
	v_fma_f16 v5, v11, s7, v4
	s_movk_i32 s10, 0x36a6
	v_mul_f16_sdwa v10, v30, s0 dst_sel:DWORD dst_unused:UNUSED_PAD src0_sel:WORD_1 src1_sel:DWORD
	v_add_f16_e32 v5, v12, v5
	v_fma_f16 v6, v27, s10, v10
	v_mul_f16_sdwa v16, v13, s0 dst_sel:DWORD dst_unused:UNUSED_PAD src0_sel:WORD_1 src1_sel:DWORD
	s_mov_b32 s11, 0xba0c
	v_add_f16_e32 v5, v6, v5
	v_fma_f16 v6, v11, s10, v16
	s_mov_b32 s13, 0xb93d
	v_mul_f16_sdwa v17, v30, s11 dst_sel:DWORD dst_unused:UNUSED_PAD src0_sel:WORD_1 src1_sel:DWORD
	s_mov_b32 s4, 0xbbeb
	v_add_f16_e32 v6, v12, v6
	v_fma_f16 v7, v27, s13, v17
	s_mov_b32 s15, 0xb08e
	v_mul_f16_sdwa v22, v15, s4 dst_sel:DWORD dst_unused:UNUSED_PAD src0_sel:WORD_1 src1_sel:DWORD
	s_movk_i32 s1, 0x3482
	v_add_f16_e32 v6, v7, v6
	v_fma_f16 v7, v14, s15, v22
	s_mov_b32 s14, 0xbbad
	v_mul_f16_sdwa v23, v15, s1 dst_sel:DWORD dst_unused:UNUSED_PAD src0_sel:WORD_1 src1_sel:DWORD
	v_add_f16_e32 v5, v7, v5
	v_fma_f16 v7, v14, s14, v23
	v_mul_f16_sdwa v24, v28, s11 dst_sel:DWORD dst_unused:UNUSED_PAD src0_sel:WORD_1 src1_sel:DWORD
	s_movk_i32 s12, 0x3beb
	v_add_f16_e32 v6, v7, v6
	v_fma_f16 v7, v26, s13, v24
	v_mul_f16_sdwa v25, v28, s12 dst_sel:DWORD dst_unused:UNUSED_PAD src0_sel:WORD_1 src1_sel:DWORD
	v_pk_add_f16 v32, v8, v9 neg_lo:[0,1] neg_hi:[0,1]
	s_mov_b32 s17, 0xb482
	v_add_f16_e32 v5, v7, v5
	v_fma_f16 v7, v26, s15, v25
	v_pk_add_f16 v31, v9, v8
	s_movk_i32 s16, 0x3853
	v_mul_f16_sdwa v8, v32, s17 dst_sel:DWORD dst_unused:UNUSED_PAD src0_sel:WORD_1 src1_sel:DWORD
	v_add_f16_e32 v7, v7, v6
	v_fma_f16 v6, v31, s14, v8
	v_mul_f16_sdwa v9, v32, s16 dst_sel:DWORD dst_unused:UNUSED_PAD src0_sel:WORD_1 src1_sel:DWORD
	v_add_f16_e32 v6, v6, v5
	v_fma_f16 v5, v31, s7, v9
	v_fma_f16 v4, v11, s7, -v4
	v_add_f16_e32 v7, v5, v7
	v_add_f16_e32 v4, v12, v4
	v_fma_f16 v5, v27, s10, -v10
	v_add_f16_e32 v4, v5, v4
	v_fma_f16 v5, v11, s10, -v16
	;; [unrolled: 2-line block ×7, first 2 shown]
	v_mul_f16_sdwa v16, v13, s11 dst_sel:DWORD dst_unused:UNUSED_PAD src0_sel:WORD_1 src1_sel:DWORD
	v_add_f16_e32 v10, v10, v5
	v_fma_f16 v5, v31, s14, -v8
	v_fma_f16 v8, v11, s13, v16
	v_mul_f16_sdwa v17, v30, s12 dst_sel:DWORD dst_unused:UNUSED_PAD src0_sel:WORD_1 src1_sel:DWORD
	v_add_f16_e32 v5, v5, v4
	v_fma_f16 v4, v31, s7, -v9
	v_add_f16_e32 v8, v12, v8
	v_fma_f16 v9, v27, s15, v17
	v_mul_f16_sdwa v22, v15, s5 dst_sel:DWORD dst_unused:UNUSED_PAD src0_sel:WORD_1 src1_sel:DWORD
	v_add_f16_e32 v8, v9, v8
	v_fma_f16 v9, v14, s7, v22
	v_mul_f16_sdwa v29, v28, s17 dst_sel:DWORD dst_unused:UNUSED_PAD src0_sel:WORD_1 src1_sel:DWORD
	v_add_f16_e32 v8, v9, v8
	v_fma_f16 v9, v26, s14, v29
	s_mov_b32 s18, 0xbbebbb47
	v_add_f16_e32 v8, v9, v8
	s_mov_b32 s6, 0x36a6b08e
	v_pk_mul_f16 v9, v13, s18
	s_mov_b32 s19, 0x3482ba0c
	v_pk_fma_f16 v33, v11, s6, v9 op_sel:[0,0,1] op_sel_hi:[1,1,0] neg_lo:[0,0,1] neg_hi:[0,0,1]
	v_pk_fma_f16 v34, v11, s6, v9 op_sel:[0,0,1] op_sel_hi:[1,1,0]
	s_mov_b32 s6, 0xffff
	s_mov_b32 s18, 0xb93dbbad
	v_pk_mul_f16 v9, v30, s19
	v_pk_fma_f16 v35, v27, s18, v9 op_sel:[0,0,1] op_sel_hi:[1,1,0] neg_lo:[0,0,1] neg_hi:[0,0,1]
	v_pk_fma_f16 v36, v27, s18, v9 op_sel:[0,0,1] op_sel_hi:[1,1,0]
	v_bfi_b32 v9, s6, v34, v33
	v_add_f16_e32 v4, v4, v10
	v_pk_add_f16 v9, v12, v9
	v_bfi_b32 v10, s6, v36, v35
	s_mov_b32 s19, 0x3b473482
	v_pk_add_f16 v9, v10, v9
	s_mov_b32 s18, 0xbbad36a6
	v_pk_mul_f16 v10, v15, s19
	v_pk_fma_f16 v37, v14, s18, v10 op_sel:[0,0,1] op_sel_hi:[1,1,0] neg_lo:[0,0,1] neg_hi:[0,0,1]
	v_pk_fma_f16 v38, v14, s18, v10 op_sel:[0,0,1] op_sel_hi:[1,1,0]
	v_bfi_b32 v10, s6, v38, v37
	s_mov_b32 s19, 0xb8533beb
	v_pk_add_f16 v9, v10, v9
	s_mov_b32 s18, 0xb08e3abb
	v_pk_mul_f16 v10, v28, s19
	v_bfi_b32 v33, s6, v33, v34
	v_pk_fma_f16 v39, v26, s18, v10 op_sel:[0,0,1] op_sel_hi:[1,1,0] neg_lo:[0,0,1] neg_hi:[0,0,1]
	v_pk_fma_f16 v40, v26, s18, v10 op_sel:[0,0,1] op_sel_hi:[1,1,0]
	v_mul_f16_sdwa v44, v11, s15 dst_sel:DWORD dst_unused:UNUSED_PAD src0_sel:WORD_1 src1_sel:DWORD
	v_bfi_b32 v34, s6, v35, v36
	v_pk_add_f16 v33, v12, v33
	v_bfi_b32 v10, s6, v40, v39
	s_movk_i32 s18, 0x3b47
	s_mov_b32 s20, 0xba0c3853
	v_mul_f16_sdwa v45, v27, s14 dst_sel:DWORD dst_unused:UNUSED_PAD src0_sel:WORD_1 src1_sel:DWORD
	v_pk_add_f16 v33, v34, v33
	v_fma_f16 v34, v13, s4, v44
	v_pk_add_f16 v10, v10, v9
	s_mov_b32 s19, 0x3abbb93d
	v_pk_mul_f16 v9, v32, s20
	v_mul_f16_sdwa v43, v32, s18 dst_sel:DWORD dst_unused:UNUSED_PAD src0_sel:WORD_1 src1_sel:DWORD
	v_add_f16_sdwa v34, v12, v34 dst_sel:DWORD dst_unused:UNUSED_PAD src0_sel:WORD_1 src1_sel:DWORD
	v_fma_f16 v35, v30, s1, v45
	v_fma_f16 v16, v11, s13, -v16
	v_pk_fma_f16 v41, v31, s19, v9 op_sel:[0,0,1] op_sel_hi:[1,1,0] neg_lo:[0,0,1] neg_hi:[0,0,1]
	v_pk_fma_f16 v42, v31, s19, v9 op_sel:[0,0,1] op_sel_hi:[1,1,0]
	v_fma_f16 v9, v31, s10, v43
	v_mul_f16_sdwa v46, v14, s10 dst_sel:DWORD dst_unused:UNUSED_PAD src0_sel:WORD_1 src1_sel:DWORD
	v_add_f16_e32 v34, v35, v34
	v_add_f16_e32 v16, v12, v16
	v_fma_f16 v17, v27, s15, -v17
	v_mul_f16_sdwa v35, v11, s13 dst_sel:DWORD dst_unused:UNUSED_PAD src0_sel:WORD_1 src1_sel:DWORD
	v_bfi_b32 v37, s6, v37, v38
	v_add_f16_e32 v9, v9, v8
	v_bfi_b32 v8, s6, v42, v41
	v_add_f16_e32 v16, v17, v16
	v_fma_f16 v17, v13, s11, v35
	v_mul_f16_sdwa v36, v27, s15 dst_sel:DWORD dst_unused:UNUSED_PAD src0_sel:WORD_1 src1_sel:DWORD
	v_pk_add_f16 v33, v37, v33
	v_fma_f16 v37, v15, s18, v46
	v_pk_add_f16 v8, v8, v10
	v_fma_f16 v10, v13, s12, v44
	v_add_f16_sdwa v17, v12, v17 dst_sel:DWORD dst_unused:UNUSED_PAD src0_sel:WORD_1 src1_sel:DWORD
	v_fma_f16 v44, v30, s12, v36
	v_add_f16_e32 v34, v37, v34
	v_fma_f16 v22, v14, s7, -v22
	v_mul_f16_sdwa v37, v14, s7 dst_sel:DWORD dst_unused:UNUSED_PAD src0_sel:WORD_1 src1_sel:DWORD
	v_add_f16_e32 v17, v44, v17
	v_add_f16_e32 v16, v22, v16
	v_fma_f16 v22, v15, s5, v37
	v_mul_f16_sdwa v47, v26, s7 dst_sel:DWORD dst_unused:UNUSED_PAD src0_sel:WORD_1 src1_sel:DWORD
	v_add_f16_e32 v17, v22, v17
	v_bfi_b32 v22, s6, v39, v40
	v_pk_add_f16 v22, v22, v33
	v_fma_f16 v33, v28, s5, v47
	v_add_f16_e32 v33, v33, v34
	v_fma_f16 v29, v26, s14, -v29
	v_mul_f16_sdwa v34, v26, s14 dst_sel:DWORD dst_unused:UNUSED_PAD src0_sel:WORD_1 src1_sel:DWORD
	v_add_f16_sdwa v10, v12, v10 dst_sel:DWORD dst_unused:UNUSED_PAD src0_sel:WORD_1 src1_sel:DWORD
	v_fma_f16 v23, v30, s17, v45
	v_add_f16_e32 v16, v29, v16
	v_fma_f16 v29, v28, s17, v34
	v_add_f16_e32 v10, v23, v10
	v_fma_f16 v23, v15, s0, v46
	v_mul_f16_sdwa v48, v31, s13 dst_sel:DWORD dst_unused:UNUSED_PAD src0_sel:WORD_1 src1_sel:DWORD
	v_add_f16_e32 v29, v29, v17
	v_bfi_b32 v17, s6, v41, v42
	v_add_f16_e32 v10, v23, v10
	v_fma_f16 v23, v28, s16, v47
	s_movk_i32 s19, 0x3a0c
	v_pk_add_f16 v17, v17, v22
	v_fma_f16 v22, v32, s11, v48
	v_add_f16_e32 v10, v23, v10
	v_fma_f16 v23, v32, s19, v48
	v_add_f16_e32 v22, v22, v33
	v_mul_f16_sdwa v33, v31, s10 dst_sel:DWORD dst_unused:UNUSED_PAD src0_sel:WORD_1 src1_sel:DWORD
	v_add_f16_e32 v23, v23, v10
	v_fma_f16 v38, v32, s18, v33
	v_mad_u32_u24 v49, v0, 40, v20
	v_bfi_b32 v10, s6, v7, v8
	v_pack_b32_f16 v24, v8, v23
	v_add_f16_e32 v29, v38, v29
	v_fma_f16 v38, v31, s10, -v43
	s_waitcnt lgkmcnt(0)
	; wave barrier
	ds_write2_b32 v49, v10, v24 offset0:2 offset1:3
	v_pk_mul_f16 v10, v11, s14 op_sel_hi:[1,0]
	v_add_f16_e32 v16, v38, v16
	v_pk_fma_f16 v24, v13, s17, v10 op_sel:[0,0,1] op_sel_hi:[1,0,0]
	v_alignbit_b32 v25, s0, v12, 16
	v_pk_mul_f16 v50, v27, s7 op_sel_hi:[1,0]
	v_pk_fma_f16 v10, v13, s17, v10 op_sel:[0,0,1] op_sel_hi:[1,0,0] neg_lo:[1,0,0] neg_hi:[1,0,0]
	v_pack_b32_f16 v38, v16, v29
	v_pack_b32_f16 v39, v17, v22
	v_mul_f16_sdwa v11, v11, s7 dst_sel:DWORD dst_unused:UNUSED_PAD src0_sel:WORD_1 src1_sel:DWORD
	v_pk_add_f16 v25, v25, v24
	v_alignbit_b32 v24, s0, v24, 16
	v_pk_fma_f16 v51, v30, s16, v50 op_sel:[0,0,1] op_sel_hi:[1,0,0]
	v_pk_add_f16 v10, v12, v10 op_sel:[1,0] op_sel_hi:[0,1]
	v_pk_fma_f16 v50, v30, s16, v50 op_sel:[0,0,1] op_sel_hi:[1,0,0] neg_lo:[1,0,0] neg_hi:[1,0,0]
	ds_write2_b32 v49, v38, v39 offset0:7 offset1:8
	v_fma_f16 v38, v13, s5, v11
	v_mul_f16_sdwa v39, v27, s10 dst_sel:DWORD dst_unused:UNUSED_PAD src0_sel:WORD_1 src1_sel:DWORD
	v_fma_f16 v11, v13, s16, v11
	v_fma_f16 v13, v13, s19, v35
	v_pk_add_f16 v24, v12, v24
	v_pk_add_f16 v10, v50, v10
	v_pk_mul_f16 v50, v14, s13 op_sel_hi:[1,0]
	v_add_f16_sdwa v38, v12, v38 dst_sel:DWORD dst_unused:UNUSED_PAD src0_sel:WORD_1 src1_sel:DWORD
	v_add_f16_sdwa v11, v12, v11 dst_sel:DWORD dst_unused:UNUSED_PAD src0_sel:WORD_1 src1_sel:DWORD
	v_add_f16_sdwa v12, v12, v13 dst_sel:DWORD dst_unused:UNUSED_PAD src0_sel:WORD_1 src1_sel:DWORD
	v_fma_f16 v13, v30, s18, v39
	v_alignbit_b32 v52, s0, v51, 16
	v_pk_add_f16 v25, v51, v25
	v_pk_fma_f16 v51, v15, s11, v50 op_sel:[0,0,1] op_sel_hi:[1,0,0]
	v_pk_fma_f16 v50, v15, s11, v50 op_sel:[0,0,1] op_sel_hi:[1,0,0] neg_lo:[1,0,0] neg_hi:[1,0,0]
	v_mul_f16_sdwa v14, v14, s15 dst_sel:DWORD dst_unused:UNUSED_PAD src0_sel:WORD_1 src1_sel:DWORD
	v_add_f16_e32 v11, v13, v11
	v_fma_f16 v13, v30, s4, v36
	v_pk_add_f16 v10, v50, v10
	v_pk_mul_f16 v50, v26, s10 op_sel_hi:[1,0]
	v_add_f16_e32 v12, v13, v12
	v_fma_f16 v13, v15, s12, v14
	v_pk_add_f16 v24, v52, v24
	v_alignbit_b32 v52, s0, v51, 16
	v_pk_add_f16 v25, v51, v25
	v_pk_fma_f16 v51, v28, s18, v50 op_sel:[0,0,1] op_sel_hi:[1,0,0]
	v_mul_f16_sdwa v26, v26, s13 dst_sel:DWORD dst_unused:UNUSED_PAD src0_sel:WORD_1 src1_sel:DWORD
	v_add_f16_e32 v11, v13, v11
	v_fma_f16 v13, v15, s16, v37
	v_pk_add_f16 v24, v52, v24
	v_alignbit_b32 v52, s0, v51, 16
	v_fma_f16 v27, v30, s0, v39
	v_add_f16_e32 v12, v13, v12
	v_fma_f16 v13, v28, s19, v26
	v_pk_add_f16 v52, v52, v24
	v_pk_fma_f16 v24, v28, s18, v50 op_sel:[0,0,1] op_sel_hi:[1,0,0] neg_lo:[1,0,0] neg_hi:[1,0,0]
	v_pk_mul_f16 v50, v31, s15 op_sel_hi:[1,0]
	v_add_f16_e32 v27, v27, v38
	v_fma_f16 v38, v15, s4, v14
	v_mul_f16_sdwa v31, v31, s14 dst_sel:DWORD dst_unused:UNUSED_PAD src0_sel:WORD_1 src1_sel:DWORD
	v_add_f16_e32 v11, v13, v11
	v_fma_f16 v13, v28, s1, v34
	v_pk_add_f16 v10, v24, v10
	v_pk_fma_f16 v24, v32, s4, v50 op_sel:[0,0,1] op_sel_hi:[1,0,0] neg_lo:[1,0,0] neg_hi:[1,0,0]
	v_add_f16_e32 v27, v38, v27
	v_fma_f16 v38, v28, s11, v26
	v_add_f16_e32 v12, v13, v12
	v_fma_f16 v13, v32, s1, v31
	v_pk_add_f16 v25, v51, v25
	v_pk_add_f16 v24, v24, v10
	v_pk_fma_f16 v10, v32, s4, v50 op_sel:[0,0,1] op_sel_hi:[1,0,0]
	v_add_f16_e32 v27, v38, v27
	v_fma_f16 v38, v32, s17, v31
	v_add_f16_e32 v31, v13, v11
	v_fma_f16 v11, v32, s0, v33
	v_pk_add_f16 v25, v10, v25
	v_alignbit_b32 v10, s0, v10, 16
	v_add_f16_e32 v30, v11, v12
	v_pack_b32_f16 v11, v6, v31
	v_pk_add_f16 v10, v10, v52
	v_add_f16_e32 v27, v38, v27
	ds_write2_b32 v49, v21, v11 offset1:1
	v_pack_b32_f16 v11, v9, v30
	v_alignbit_b32 v50, v25, v24, 16
	v_pack_b32_f16 v51, v10, v24
	v_bfi_b32 v38, s6, v4, v17
	v_pack_b32_f16 v40, v5, v27
	ds_write_b32 v49, v11 offset:16
	v_lshrrev_b32_e32 v11, 16, v24
	v_cmp_gt_u32_e64 s[0:1], 11, v0
	v_lshrrev_b32_e32 v33, 16, v8
	ds_write2_b32 v49, v51, v50 offset0:5 offset1:6
	ds_write2_b32 v49, v38, v40 offset0:9 offset1:10
	s_waitcnt lgkmcnt(0)
	; wave barrier
	s_waitcnt lgkmcnt(0)
                                        ; implicit-def: $vgpr34
                                        ; implicit-def: $vgpr26
                                        ; implicit-def: $vgpr28
                                        ; implicit-def: $vgpr32
                                        ; implicit-def: $vgpr36
                                        ; implicit-def: $vgpr35
                                        ; implicit-def: $vgpr12
                                        ; implicit-def: $vgpr14
	s_and_saveexec_b64 s[4:5], s[0:1]
	s_cbranch_execz .LBB0_13
; %bb.12:
	ds_read2_b32 v[16:17], v20 offset0:77 offset1:88
	ds_read2_b32 v[6:7], v20 offset0:11 offset1:22
	;; [unrolled: 1-line block ×7, first 2 shown]
	ds_read_b32 v21, v18
	ds_read_b32 v35, v20 offset:660
	s_waitcnt lgkmcnt(8)
	v_lshrrev_b32_e32 v22, 16, v17
	s_waitcnt lgkmcnt(6)
	v_lshrrev_b32_e32 v27, 16, v5
	;; [unrolled: 2-line block ×3, first 2 shown]
	v_lshrrev_b32_e32 v34, 16, v12
	v_lshrrev_b32_e32 v26, 16, v13
	;; [unrolled: 1-line block ×3, first 2 shown]
	s_waitcnt lgkmcnt(0)
	v_lshrrev_b32_e32 v36, 16, v35
	v_lshrrev_b32_e32 v31, 16, v6
	;; [unrolled: 1-line block ×8, first 2 shown]
	v_bfi_b32 v17, s6, v17, v4
.LBB0_13:
	s_or_b64 exec, exec, s[4:5]
	s_waitcnt lgkmcnt(0)
	; wave barrier
	s_waitcnt lgkmcnt(0)
	s_and_saveexec_b64 s[4:5], s[0:1]
	s_cbranch_execz .LBB0_15
; %bb.14:
	v_add_u32_e32 v37, -11, v0
	v_cndmask_b32_e64 v37, v37, v0, s[0:1]
	v_mul_i32_i24_e32 v37, 15, v37
	v_mov_b32_e32 v38, 0
	v_lshlrev_b64 v[37:38], 2, v[37:38]
	v_mov_b32_e32 v39, s9
	v_add_co_u32_e64 v52, s[0:1], s8, v37
	v_addc_co_u32_e64 v53, s[0:1], v39, v38, s[0:1]
	global_load_dwordx4 v[37:40], v[52:53], off
	global_load_dwordx4 v[41:44], v[52:53], off offset:32
	global_load_dwordx4 v[45:48], v[52:53], off offset:16
	global_load_dwordx3 v[49:51], v[52:53], off offset:48
	v_lshrrev_b32_e32 v52, 16, v17
	s_movk_i32 s0, 0x39a8
	s_mov_b32 s1, 0xb9a8
	s_mov_b32 s6, 0xb61f
	s_movk_i32 s7, 0x3b64
	s_mov_b32 s10, 0xbb64
	s_movk_i32 s11, 0x361f
	s_waitcnt vmcnt(3)
	v_mul_f16_sdwa v53, v6, v37 dst_sel:DWORD dst_unused:UNUSED_PAD src0_sel:DWORD src1_sel:WORD_1
	v_mul_f16_sdwa v57, v8, v39 dst_sel:DWORD dst_unused:UNUSED_PAD src0_sel:DWORD src1_sel:WORD_1
	s_waitcnt vmcnt(1)
	v_mul_f16_sdwa v59, v29, v47 dst_sel:DWORD dst_unused:UNUSED_PAD src0_sel:DWORD src1_sel:WORD_1
	v_mul_f16_sdwa v60, v16, v47 dst_sel:DWORD dst_unused:UNUSED_PAD src0_sel:DWORD src1_sel:WORD_1
	v_fma_f16 v16, v16, v47, v59
	v_mul_f16_sdwa v59, v33, v38 dst_sel:DWORD dst_unused:UNUSED_PAD src0_sel:DWORD src1_sel:WORD_1
	v_mul_f16_sdwa v61, v7, v38 dst_sel:DWORD dst_unused:UNUSED_PAD src0_sel:DWORD src1_sel:WORD_1
	;; [unrolled: 1-line block ×3, first 2 shown]
	v_fma_f16 v7, v7, v38, v59
	v_mul_f16_sdwa v59, v25, v46 dst_sel:DWORD dst_unused:UNUSED_PAD src0_sel:DWORD src1_sel:WORD_1
	v_mul_f16_sdwa v58, v12, v43 dst_sel:DWORD dst_unused:UNUSED_PAD src0_sel:DWORD src1_sel:WORD_1
	v_fma_f16 v6, v6, v37, v62
	v_mul_f16_sdwa v62, v11, v46 dst_sel:DWORD dst_unused:UNUSED_PAD src0_sel:DWORD src1_sel:WORD_1
	v_fma_f16 v11, v11, v46, v59
	s_waitcnt vmcnt(0)
	v_mul_f16_sdwa v59, v36, v51 dst_sel:DWORD dst_unused:UNUSED_PAD src0_sel:DWORD src1_sel:WORD_1
	v_fma_f16 v31, v31, v37, -v53
	v_mul_f16_sdwa v37, v23, v39 dst_sel:DWORD dst_unused:UNUSED_PAD src0_sel:DWORD src1_sel:WORD_1
	v_fma_f16 v23, v23, v39, -v57
	v_mul_f16_sdwa v57, v35, v51 dst_sel:DWORD dst_unused:UNUSED_PAD src0_sel:DWORD src1_sel:WORD_1
	v_mul_f16_sdwa v54, v4, v41 dst_sel:DWORD dst_unused:UNUSED_PAD src0_sel:DWORD src1_sel:WORD_1
	;; [unrolled: 1-line block ×5, first 2 shown]
	v_fma_f16 v34, v34, v43, -v58
	v_fma_f16 v35, v35, v51, v59
	v_mul_f16_sdwa v58, v22, v48 dst_sel:DWORD dst_unused:UNUSED_PAD src0_sel:DWORD src1_sel:WORD_1
	v_fma_f16 v29, v29, v47, -v60
	v_mul_f16_sdwa v47, v9, v40 dst_sel:DWORD dst_unused:UNUSED_PAD src0_sel:DWORD src1_sel:WORD_1
	v_fma_f16 v36, v36, v51, -v57
	;; [unrolled: 2-line block ×4, first 2 shown]
	v_mul_f16_sdwa v46, v15, v50 dst_sel:DWORD dst_unused:UNUSED_PAD src0_sel:DWORD src1_sel:WORD_1
	v_fma_f16 v55, v10, v45, v55
	v_mul_f16_sdwa v10, v10, v45 dst_sel:DWORD dst_unused:UNUSED_PAD src0_sel:DWORD src1_sel:WORD_1
	v_fma_f16 v46, v32, v50, -v46
	v_mul_f16_sdwa v32, v32, v50 dst_sel:DWORD dst_unused:UNUSED_PAD src0_sel:DWORD src1_sel:WORD_1
	v_fma_f16 v38, v27, v42, -v38
	;; [unrolled: 2-line block ×4, first 2 shown]
	v_mul_f16_sdwa v30, v30, v40 dst_sel:DWORD dst_unused:UNUSED_PAD src0_sel:DWORD src1_sel:WORD_1
	v_fma_f16 v56, v14, v49, v56
	v_fma_f16 v8, v8, v39, v37
	;; [unrolled: 1-line block ×3, first 2 shown]
	v_fma_f16 v39, v26, v44, -v51
	v_mul_f16_sdwa v14, v14, v49 dst_sel:DWORD dst_unused:UNUSED_PAD src0_sel:DWORD src1_sel:WORD_1
	v_mul_f16_sdwa v17, v17, v48 dst_sel:DWORD dst_unused:UNUSED_PAD src0_sel:DWORD src1_sel:WORD_1
	;; [unrolled: 1-line block ×3, first 2 shown]
	v_fma_f16 v12, v12, v43, v53
	v_fma_f16 v15, v15, v50, v32
	;; [unrolled: 1-line block ×4, first 2 shown]
	v_fma_f16 v10, v24, v45, -v10
	v_fma_f16 v9, v9, v40, v30
	v_fma_f16 v14, v28, v49, -v14
	v_fma_f16 v17, v22, v48, -v17
	v_lshrrev_b32_e32 v22, 16, v21
	v_fma_f16 v13, v13, v44, v26
	v_sub_f16_e32 v24, v31, v54
	v_sub_f16_e32 v27, v55, v56
	;; [unrolled: 1-line block ×18, first 2 shown]
	v_add_f16_e32 v41, v12, v34
	v_add_f16_e32 v42, v35, v36
	v_sub_f16_e32 v43, v37, v15
	v_add_f16_e32 v45, v5, v38
	v_add_f16_e32 v28, v4, v14
	v_sub_f16_e32 v26, v17, v13
	v_fma_f16 v46, v40, s0, v39
	v_fma_f16 v50, v45, s0, v42
	;; [unrolled: 1-line block ×8, first 2 shown]
	v_fma_f16 v51, v39, 2.0, -v46
	v_fma_f16 v52, v42, 2.0, -v50
	;; [unrolled: 1-line block ×25, first 2 shown]
	v_fma_f16 v54, v53, s6, v52
	v_sub_f16_e32 v10, v24, v10
	v_sub_f16_e32 v12, v8, v12
	;; [unrolled: 1-line block ×8, first 2 shown]
	v_fma_f16 v54, v51, s7, v54
	v_fma_f16 v51, v51, s6, v48
	v_fma_f16 v40, v30, 2.0, -v40
	v_sub_f16_e32 v14, v10, v12
	v_add_f16_e32 v25, v9, v21
	v_add_f16_e32 v29, v6, v27
	v_sub_f16_e32 v11, v22, v7
	v_fma_f16 v51, v53, s10, v51
	v_fma_f16 v53, v40, s1, v39
	v_fma_f16 v42, v35, 2.0, -v42
	v_fma_f16 v30, v29, s0, v25
	v_fma_f16 v15, v14, s0, v11
	;; [unrolled: 1-line block ×3, first 2 shown]
	v_fma_f16 v43, v37, 2.0, -v43
	v_fma_f16 v56, v45, s1, v42
	v_fma_f16 v41, v41, s1, v28
	;; [unrolled: 1-line block ×4, first 2 shown]
	v_fma_f16 v14, v10, 2.0, -v14
	v_fma_f16 v33, v9, 2.0, -v25
	;; [unrolled: 1-line block ×7, first 2 shown]
	v_fma_f16 v56, v43, s0, v56
	v_fma_f16 v40, v40, s0, v41
	;; [unrolled: 1-line block ×4, first 2 shown]
	v_sub_f16_e32 v5, v9, v5
	v_sub_f16_e32 v10, v7, v10
	v_fma_f16 v17, v17, 2.0, -v22
	v_fma_f16 v13, v13, 2.0, -v21
	;; [unrolled: 1-line block ×4, first 2 shown]
	v_fma_f16 v43, v45, s1, v43
	v_fma_f16 v34, v14, s0, v34
	v_add_f16_e32 v16, v5, v10
	v_sub_f16_e32 v13, v17, v13
	v_sub_f16_e32 v6, v4, v6
	v_fma_f16 v24, v42, 2.0, -v56
	v_fma_f16 v28, v28, 2.0, -v40
	;; [unrolled: 1-line block ×3, first 2 shown]
	v_sub_f16_e32 v8, v13, v6
	v_fma_f16 v12, v33, 2.0, -v34
	v_fma_f16 v22, v5, 2.0, -v16
	;; [unrolled: 1-line block ×3, first 2 shown]
	v_fma_f16 v33, v28, s10, v24
	v_fma_f16 v26, v26, 2.0, -v43
	v_fma_f16 v5, v9, 2.0, -v5
	;; [unrolled: 1-line block ×5, first 2 shown]
	v_fma_f16 v14, v14, s1, v35
	v_fma_f16 v33, v27, s11, v33
	;; [unrolled: 1-line block ×3, first 2 shown]
	v_sub_f16_e32 v4, v5, v4
	v_sub_f16_e32 v7, v6, v7
	v_fma_f16 v14, v29, s1, v14
	v_fma_f16 v27, v28, s6, v27
	v_fma_f16 v5, v5, 2.0, -v4
	v_fma_f16 v6, v6, 2.0, -v7
	v_fma_f16 v41, v40, s11, v56
	v_fma_f16 v45, v53, s11, v43
	v_fma_f16 v57, v49, s7, v50
	v_fma_f16 v21, v35, 2.0, -v14
	v_fma_f16 v24, v24, 2.0, -v33
	v_fma_f16 v26, v26, 2.0, -v27
	v_pack_b32_f16 v5, v5, v6
	v_fma_f16 v41, v53, s7, v41
	v_fma_f16 v45, v40, s10, v45
	;; [unrolled: 1-line block ×4, first 2 shown]
	v_fma_f16 v29, v52, 2.0, -v54
	v_fma_f16 v36, v48, 2.0, -v51
	;; [unrolled: 1-line block ×3, first 2 shown]
	ds_write_b32 v18, v5
	v_pack_b32_f16 v5, v24, v26
	v_pack_b32_f16 v6, v12, v21
	v_fma_f16 v46, v49, s6, v46
	v_fma_f16 v31, v56, 2.0, -v41
	v_fma_f16 v32, v43, 2.0, -v45
	;; [unrolled: 1-line block ×4, first 2 shown]
	ds_write2_b32 v20, v5, v6 offset0:11 offset1:22
	v_pack_b32_f16 v5, v29, v36
	v_pack_b32_f16 v6, v22, v23
	v_fma_f16 v50, v50, 2.0, -v57
	v_fma_f16 v44, v44, 2.0, -v46
	ds_write2_b32 v20, v5, v6 offset0:33 offset1:44
	v_pack_b32_f16 v5, v31, v32
	v_pack_b32_f16 v6, v9, v10
	ds_write2_b32 v20, v5, v6 offset0:55 offset1:66
	v_pack_b32_f16 v5, v50, v44
	v_pack_b32_f16 v4, v4, v7
	;; [unrolled: 3-line block ×5, first 2 shown]
	ds_write2_b32 v20, v4, v5 offset0:143 offset1:154
	v_pack_b32_f16 v4, v57, v46
	ds_write_b32 v20, v4 offset:660
.LBB0_15:
	s_or_b64 exec, exec, s[4:5]
	s_waitcnt lgkmcnt(0)
	; wave barrier
	s_waitcnt lgkmcnt(0)
	ds_read_b32 v6, v18
	v_sub_u32_e32 v8, v19, v1
	v_cmp_ne_u32_e64 s[0:1], 0, v0
                                        ; implicit-def: $vgpr11
                                        ; implicit-def: $vgpr9
                                        ; implicit-def: $vgpr10
                                        ; implicit-def: $vgpr4_vgpr5
	s_and_saveexec_b64 s[4:5], s[0:1]
	s_xor_b64 s[0:1], exec, s[4:5]
	s_cbranch_execz .LBB0_17
; %bb.16:
	global_load_dword v4, v1, s[8:9] offset:660
	ds_read_b32 v5, v8 offset:704
	v_mov_b32_e32 v1, 0
                                        ; implicit-def: $vgpr19
	s_waitcnt lgkmcnt(0)
	v_add_f16_sdwa v9, v5, v6 dst_sel:DWORD dst_unused:UNUSED_PAD src0_sel:WORD_1 src1_sel:WORD_1
	v_sub_f16_e32 v10, v6, v5
	v_add_f16_e32 v7, v5, v6
	v_sub_f16_sdwa v5, v6, v5 dst_sel:DWORD dst_unused:UNUSED_PAD src0_sel:WORD_1 src1_sel:WORD_1
	v_mul_f16_e32 v6, 0.5, v9
	v_mul_f16_e32 v9, 0.5, v10
	;; [unrolled: 1-line block ×3, first 2 shown]
	s_waitcnt vmcnt(0)
	v_lshrrev_b32_e32 v10, 16, v4
	v_mul_f16_e32 v11, v10, v9
	v_fma_f16 v12, v6, v10, v5
	v_fma_f16 v5, v6, v10, -v5
	v_fma_f16 v13, v7, 0.5, v11
	v_fma_f16 v7, v7, 0.5, -v11
	v_fma_f16 v11, -v4, v9, v5
	v_fma_f16 v5, v4, v6, v13
	v_fma_f16 v10, -v4, v9, v12
	v_fma_f16 v9, -v4, v6, v7
	ds_write_b16 v18, v5
	v_mov_b32_e32 v5, v1
	v_mov_b32_e32 v4, v0
                                        ; implicit-def: $vgpr6
.LBB0_17:
	s_andn2_saveexec_b64 s[0:1], s[0:1]
	s_cbranch_execz .LBB0_19
; %bb.18:
	ds_read_u16 v1, v19 offset:354
	v_mov_b32_e32 v4, 0
	s_waitcnt lgkmcnt(1)
	v_add_f16_sdwa v7, v6, v6 dst_sel:DWORD dst_unused:UNUSED_PAD src0_sel:WORD_1 src1_sel:DWORD
	v_sub_f16_sdwa v9, v6, v6 dst_sel:DWORD dst_unused:UNUSED_PAD src0_sel:DWORD src1_sel:WORD_1
	v_mov_b32_e32 v5, 0
	s_waitcnt lgkmcnt(0)
	v_xor_b32_e32 v1, 0x8000, v1
	v_mov_b32_e32 v10, 0
	v_mov_b32_e32 v11, 0
	ds_write_b16 v18, v7
	ds_write_b16 v19, v1 offset:354
.LBB0_19:
	s_or_b64 exec, exec, s[0:1]
	s_add_u32 s0, s8, 0x294
	v_lshlrev_b64 v[4:5], 2, v[4:5]
	s_addc_u32 s1, s9, 0
	v_mov_b32_e32 v1, s1
	s_waitcnt lgkmcnt(0)
	v_add_co_u32_e64 v6, s[0:1], s0, v4
	v_addc_co_u32_e64 v7, s[0:1], v1, v5, s[0:1]
	global_load_dword v1, v[6:7], off offset:64
	global_load_dword v12, v[6:7], off offset:128
	;; [unrolled: 1-line block ×3, first 2 shown]
	s_mov_b32 s0, 0x5040100
	v_perm_b32 v9, v11, v9, s0
	ds_write_b16 v18, v10 offset:2
	ds_write_b32 v8, v9 offset:704
	ds_read_b32 v9, v18 offset:64
	ds_read_b32 v10, v8 offset:640
	global_load_dword v11, v[6:7], off offset:256
	s_mov_b32 s6, 0xffff
	s_movk_i32 s0, 0x58
	s_waitcnt lgkmcnt(0)
	v_pk_add_f16 v14, v9, v10 neg_lo:[0,1] neg_hi:[0,1]
	v_pk_add_f16 v9, v9, v10
	v_bfi_b32 v10, s6, v14, v9
	v_bfi_b32 v9, s6, v9, v14
	v_pk_mul_f16 v10, v10, 0.5 op_sel_hi:[1,0]
	v_pk_mul_f16 v9, v9, 0.5 op_sel_hi:[1,0]
	s_waitcnt vmcnt(3)
	v_pk_fma_f16 v14, v1, v10, v9 op_sel:[1,0,0]
	v_pk_mul_f16 v15, v1, v10 op_sel_hi:[0,1]
	v_pk_fma_f16 v16, v1, v10, v9 op_sel:[1,0,0] neg_lo:[1,0,0] neg_hi:[1,0,0]
	v_pk_fma_f16 v1, v1, v10, v9 op_sel:[1,0,0] neg_lo:[0,0,1] neg_hi:[0,0,1]
	v_pk_add_f16 v9, v14, v15 op_sel:[0,1] op_sel_hi:[1,0]
	v_pk_add_f16 v10, v14, v15 op_sel:[0,1] op_sel_hi:[1,0] neg_lo:[0,1] neg_hi:[0,1]
	v_pk_add_f16 v14, v16, v15 op_sel:[0,1] op_sel_hi:[1,0] neg_lo:[0,1] neg_hi:[0,1]
	v_pk_add_f16 v1, v1, v15 op_sel:[0,1] op_sel_hi:[1,0] neg_lo:[0,1] neg_hi:[0,1]
	v_bfi_b32 v9, s6, v9, v10
	v_bfi_b32 v1, s6, v14, v1
	ds_write_b32 v18, v9 offset:64
	ds_write_b32 v8, v1 offset:640
	ds_read_b32 v1, v18 offset:128
	ds_read_b32 v9, v8 offset:576
	s_waitcnt lgkmcnt(0)
	v_pk_add_f16 v10, v1, v9 neg_lo:[0,1] neg_hi:[0,1]
	v_pk_add_f16 v1, v1, v9
	v_bfi_b32 v9, s6, v10, v1
	v_bfi_b32 v1, s6, v1, v10
	v_pk_mul_f16 v9, v9, 0.5 op_sel_hi:[1,0]
	v_pk_mul_f16 v1, v1, 0.5 op_sel_hi:[1,0]
	s_waitcnt vmcnt(2)
	v_pk_fma_f16 v10, v12, v9, v1 op_sel:[1,0,0]
	v_pk_mul_f16 v14, v12, v9 op_sel_hi:[0,1]
	v_pk_fma_f16 v15, v12, v9, v1 op_sel:[1,0,0] neg_lo:[1,0,0] neg_hi:[1,0,0]
	v_pk_fma_f16 v1, v12, v9, v1 op_sel:[1,0,0] neg_lo:[0,0,1] neg_hi:[0,0,1]
	v_pk_add_f16 v9, v10, v14 op_sel:[0,1] op_sel_hi:[1,0]
	v_pk_add_f16 v10, v10, v14 op_sel:[0,1] op_sel_hi:[1,0] neg_lo:[0,1] neg_hi:[0,1]
	v_pk_add_f16 v12, v15, v14 op_sel:[0,1] op_sel_hi:[1,0] neg_lo:[0,1] neg_hi:[0,1]
	v_pk_add_f16 v1, v1, v14 op_sel:[0,1] op_sel_hi:[1,0] neg_lo:[0,1] neg_hi:[0,1]
	v_bfi_b32 v9, s6, v9, v10
	v_bfi_b32 v1, s6, v12, v1
	ds_write_b32 v18, v9 offset:128
	ds_write_b32 v8, v1 offset:576
	ds_read_b32 v1, v18 offset:192
	ds_read_b32 v9, v8 offset:512
	;; [unrolled: 22-line block ×3, first 2 shown]
	v_or_b32_e32 v10, 0x50, v0
	v_cmp_gt_u32_e64 s[0:1], s0, v10
	s_waitcnt lgkmcnt(0)
	v_pk_add_f16 v12, v1, v9 neg_lo:[0,1] neg_hi:[0,1]
	v_pk_add_f16 v1, v1, v9
	v_bfi_b32 v9, s6, v12, v1
	v_bfi_b32 v1, s6, v1, v12
	v_pk_mul_f16 v9, v9, 0.5 op_sel_hi:[1,0]
	v_pk_mul_f16 v1, v1, 0.5 op_sel_hi:[1,0]
	s_waitcnt vmcnt(0)
	v_pk_fma_f16 v12, v11, v9, v1 op_sel:[1,0,0]
	v_pk_mul_f16 v13, v11, v9 op_sel_hi:[0,1]
	v_pk_fma_f16 v14, v11, v9, v1 op_sel:[1,0,0] neg_lo:[1,0,0] neg_hi:[1,0,0]
	v_pk_fma_f16 v1, v11, v9, v1 op_sel:[1,0,0] neg_lo:[0,0,1] neg_hi:[0,0,1]
	v_pk_add_f16 v9, v12, v13 op_sel:[0,1] op_sel_hi:[1,0]
	v_pk_add_f16 v11, v12, v13 op_sel:[0,1] op_sel_hi:[1,0] neg_lo:[0,1] neg_hi:[0,1]
	v_pk_add_f16 v12, v14, v13 op_sel:[0,1] op_sel_hi:[1,0] neg_lo:[0,1] neg_hi:[0,1]
	;; [unrolled: 1-line block ×3, first 2 shown]
	v_bfi_b32 v9, s6, v9, v11
	v_bfi_b32 v1, s6, v12, v1
	ds_write_b32 v18, v9 offset:256
	ds_write_b32 v8, v1 offset:448
	s_and_saveexec_b64 s[4:5], s[0:1]
	s_cbranch_execz .LBB0_21
; %bb.20:
	global_load_dword v1, v[6:7], off offset:320
	ds_read_b32 v6, v18 offset:320
	ds_read_b32 v7, v8 offset:384
	s_waitcnt lgkmcnt(0)
	v_pk_add_f16 v9, v6, v7 neg_lo:[0,1] neg_hi:[0,1]
	v_pk_add_f16 v6, v6, v7
	v_bfi_b32 v7, s6, v9, v6
	v_bfi_b32 v6, s6, v6, v9
	v_pk_mul_f16 v7, v7, 0.5 op_sel_hi:[1,0]
	v_pk_mul_f16 v6, v6, 0.5 op_sel_hi:[1,0]
	s_waitcnt vmcnt(0)
	v_pk_fma_f16 v9, v1, v7, v6 op_sel:[1,0,0]
	v_pk_mul_f16 v10, v1, v7 op_sel_hi:[0,1]
	v_pk_fma_f16 v11, v1, v7, v6 op_sel:[1,0,0] neg_lo:[1,0,0] neg_hi:[1,0,0]
	v_pk_fma_f16 v1, v1, v7, v6 op_sel:[1,0,0] neg_lo:[0,0,1] neg_hi:[0,0,1]
	v_pk_add_f16 v6, v9, v10 op_sel:[0,1] op_sel_hi:[1,0]
	v_pk_add_f16 v7, v9, v10 op_sel:[0,1] op_sel_hi:[1,0] neg_lo:[0,1] neg_hi:[0,1]
	v_pk_add_f16 v9, v11, v10 op_sel:[0,1] op_sel_hi:[1,0] neg_lo:[0,1] neg_hi:[0,1]
	;; [unrolled: 1-line block ×3, first 2 shown]
	v_bfi_b32 v6, s6, v6, v7
	v_bfi_b32 v1, s6, v9, v1
	ds_write_b32 v18, v6 offset:320
	ds_write_b32 v8, v1 offset:384
.LBB0_21:
	s_or_b64 exec, exec, s[4:5]
	s_waitcnt lgkmcnt(0)
	; wave barrier
	s_waitcnt lgkmcnt(0)
	s_and_saveexec_b64 s[0:1], vcc
	s_cbranch_execz .LBB0_24
; %bb.22:
	ds_read2_b32 v[6:7], v18 offset1:16
	v_mov_b32_e32 v8, s3
	v_add_co_u32_e32 v1, vcc, s2, v2
	v_addc_co_u32_e32 v2, vcc, v8, v3, vcc
	ds_read2_b32 v[8:9], v18 offset0:32 offset1:48
	v_add_co_u32_e32 v3, vcc, v1, v4
	v_addc_co_u32_e32 v4, vcc, v2, v5, vcc
	s_waitcnt lgkmcnt(1)
	global_store_dword v[3:4], v6, off
	ds_read2_b32 v[5:6], v18 offset0:64 offset1:80
	global_store_dword v[3:4], v7, off offset:64
	s_waitcnt lgkmcnt(1)
	global_store_dword v[3:4], v8, off offset:128
	global_store_dword v[3:4], v9, off offset:192
	ds_read2_b32 v[7:8], v18 offset0:96 offset1:112
	ds_read2_b32 v[9:10], v18 offset0:128 offset1:144
	v_cmp_eq_u32_e32 vcc, 15, v0
	s_waitcnt lgkmcnt(2)
	global_store_dword v[3:4], v5, off offset:256
	ds_read_b32 v5, v18 offset:640
	global_store_dword v[3:4], v6, off offset:320
	s_waitcnt lgkmcnt(2)
	global_store_dword v[3:4], v7, off offset:384
	global_store_dword v[3:4], v8, off offset:448
	s_waitcnt lgkmcnt(1)
	global_store_dword v[3:4], v9, off offset:512
	;; [unrolled: 3-line block ×3, first 2 shown]
	s_and_b64 exec, exec, vcc
	s_cbranch_execz .LBB0_24
; %bb.23:
	ds_read_b32 v0, v18 offset:644
	s_waitcnt lgkmcnt(0)
	global_store_dword v[1:2], v0, off offset:704
.LBB0_24:
	s_endpgm
	.section	.rodata,"a",@progbits
	.p2align	6, 0x0
	.amdhsa_kernel fft_rtc_back_len176_factors_11_16_wgs_64_tpt_16_halfLds_half_ip_CI_unitstride_sbrr_R2C_dirReg
		.amdhsa_group_segment_fixed_size 0
		.amdhsa_private_segment_fixed_size 0
		.amdhsa_kernarg_size 88
		.amdhsa_user_sgpr_count 6
		.amdhsa_user_sgpr_private_segment_buffer 1
		.amdhsa_user_sgpr_dispatch_ptr 0
		.amdhsa_user_sgpr_queue_ptr 0
		.amdhsa_user_sgpr_kernarg_segment_ptr 1
		.amdhsa_user_sgpr_dispatch_id 0
		.amdhsa_user_sgpr_flat_scratch_init 0
		.amdhsa_user_sgpr_private_segment_size 0
		.amdhsa_uses_dynamic_stack 0
		.amdhsa_system_sgpr_private_segment_wavefront_offset 0
		.amdhsa_system_sgpr_workgroup_id_x 1
		.amdhsa_system_sgpr_workgroup_id_y 0
		.amdhsa_system_sgpr_workgroup_id_z 0
		.amdhsa_system_sgpr_workgroup_info 0
		.amdhsa_system_vgpr_workitem_id 0
		.amdhsa_next_free_vgpr 63
		.amdhsa_next_free_sgpr 22
		.amdhsa_reserve_vcc 1
		.amdhsa_reserve_flat_scratch 0
		.amdhsa_float_round_mode_32 0
		.amdhsa_float_round_mode_16_64 0
		.amdhsa_float_denorm_mode_32 3
		.amdhsa_float_denorm_mode_16_64 3
		.amdhsa_dx10_clamp 1
		.amdhsa_ieee_mode 1
		.amdhsa_fp16_overflow 0
		.amdhsa_exception_fp_ieee_invalid_op 0
		.amdhsa_exception_fp_denorm_src 0
		.amdhsa_exception_fp_ieee_div_zero 0
		.amdhsa_exception_fp_ieee_overflow 0
		.amdhsa_exception_fp_ieee_underflow 0
		.amdhsa_exception_fp_ieee_inexact 0
		.amdhsa_exception_int_div_zero 0
	.end_amdhsa_kernel
	.text
.Lfunc_end0:
	.size	fft_rtc_back_len176_factors_11_16_wgs_64_tpt_16_halfLds_half_ip_CI_unitstride_sbrr_R2C_dirReg, .Lfunc_end0-fft_rtc_back_len176_factors_11_16_wgs_64_tpt_16_halfLds_half_ip_CI_unitstride_sbrr_R2C_dirReg
                                        ; -- End function
	.section	.AMDGPU.csdata,"",@progbits
; Kernel info:
; codeLenInByte = 6976
; NumSgprs: 26
; NumVgprs: 63
; ScratchSize: 0
; MemoryBound: 0
; FloatMode: 240
; IeeeMode: 1
; LDSByteSize: 0 bytes/workgroup (compile time only)
; SGPRBlocks: 3
; VGPRBlocks: 15
; NumSGPRsForWavesPerEU: 26
; NumVGPRsForWavesPerEU: 63
; Occupancy: 4
; WaveLimiterHint : 1
; COMPUTE_PGM_RSRC2:SCRATCH_EN: 0
; COMPUTE_PGM_RSRC2:USER_SGPR: 6
; COMPUTE_PGM_RSRC2:TRAP_HANDLER: 0
; COMPUTE_PGM_RSRC2:TGID_X_EN: 1
; COMPUTE_PGM_RSRC2:TGID_Y_EN: 0
; COMPUTE_PGM_RSRC2:TGID_Z_EN: 0
; COMPUTE_PGM_RSRC2:TIDIG_COMP_CNT: 0
	.type	__hip_cuid_e80deb7fb1dd63b2,@object ; @__hip_cuid_e80deb7fb1dd63b2
	.section	.bss,"aw",@nobits
	.globl	__hip_cuid_e80deb7fb1dd63b2
__hip_cuid_e80deb7fb1dd63b2:
	.byte	0                               ; 0x0
	.size	__hip_cuid_e80deb7fb1dd63b2, 1

	.ident	"AMD clang version 19.0.0git (https://github.com/RadeonOpenCompute/llvm-project roc-6.4.0 25133 c7fe45cf4b819c5991fe208aaa96edf142730f1d)"
	.section	".note.GNU-stack","",@progbits
	.addrsig
	.addrsig_sym __hip_cuid_e80deb7fb1dd63b2
	.amdgpu_metadata
---
amdhsa.kernels:
  - .args:
      - .actual_access:  read_only
        .address_space:  global
        .offset:         0
        .size:           8
        .value_kind:     global_buffer
      - .offset:         8
        .size:           8
        .value_kind:     by_value
      - .actual_access:  read_only
        .address_space:  global
        .offset:         16
        .size:           8
        .value_kind:     global_buffer
      - .actual_access:  read_only
        .address_space:  global
        .offset:         24
        .size:           8
        .value_kind:     global_buffer
      - .offset:         32
        .size:           8
        .value_kind:     by_value
      - .actual_access:  read_only
        .address_space:  global
        .offset:         40
        .size:           8
        .value_kind:     global_buffer
      - .actual_access:  read_only
        .address_space:  global
        .offset:         48
        .size:           8
        .value_kind:     global_buffer
      - .offset:         56
        .size:           4
        .value_kind:     by_value
      - .actual_access:  read_only
        .address_space:  global
        .offset:         64
        .size:           8
        .value_kind:     global_buffer
      - .actual_access:  read_only
        .address_space:  global
        .offset:         72
        .size:           8
        .value_kind:     global_buffer
      - .address_space:  global
        .offset:         80
        .size:           8
        .value_kind:     global_buffer
    .group_segment_fixed_size: 0
    .kernarg_segment_align: 8
    .kernarg_segment_size: 88
    .language:       OpenCL C
    .language_version:
      - 2
      - 0
    .max_flat_workgroup_size: 64
    .name:           fft_rtc_back_len176_factors_11_16_wgs_64_tpt_16_halfLds_half_ip_CI_unitstride_sbrr_R2C_dirReg
    .private_segment_fixed_size: 0
    .sgpr_count:     26
    .sgpr_spill_count: 0
    .symbol:         fft_rtc_back_len176_factors_11_16_wgs_64_tpt_16_halfLds_half_ip_CI_unitstride_sbrr_R2C_dirReg.kd
    .uniform_work_group_size: 1
    .uses_dynamic_stack: false
    .vgpr_count:     63
    .vgpr_spill_count: 0
    .wavefront_size: 64
amdhsa.target:   amdgcn-amd-amdhsa--gfx906
amdhsa.version:
  - 1
  - 2
...

	.end_amdgpu_metadata
